;; amdgpu-corpus repo=zjin-lcf/HeCBench kind=compiled arch=gfx1030 opt=O3
	.amdgcn_target "amdgcn-amd-amdhsa--gfx1030"
	.amdhsa_code_object_version 6
	.text
	.protected	_ZN10mean_shift3gpu10mean_shiftEPKfPf ; -- Begin function _ZN10mean_shift3gpu10mean_shiftEPKfPf
	.globl	_ZN10mean_shift3gpu10mean_shiftEPKfPf
	.p2align	8
	.type	_ZN10mean_shift3gpu10mean_shiftEPKfPf,@function
_ZN10mean_shift3gpu10mean_shiftEPKfPf:  ; @_ZN10mean_shift3gpu10mean_shiftEPKfPf
; %bb.0:
	s_load_dword s0, s[4:5], 0x1c
	s_waitcnt lgkmcnt(0)
	s_and_b32 s0, s0, 0xffff
	v_mad_u64_u32 v[0:1], null, s6, s0, v[0:1]
	s_mov_b32 s0, exec_lo
	v_cmpx_gt_u32_e32 0x2710, v0
	s_cbranch_execz .LBB0_8
; %bb.1:
	s_load_dwordx4 s[0:3], s[4:5], 0x0
	v_lshl_add_u32 v2, v0, 1, v0
	v_mov_b32_e32 v3, 0
	s_mov_b32 s4, 0xfffe2b40
	s_mov_b32 s5, -1
	s_mov_b32 s10, 0x1d4c0
	s_mov_b32 s11, 0x1d4cc
	v_lshlrev_b64 v[4:5], 2, v[2:3]
	v_mov_b32_e32 v6, v3
	v_mov_b32_e32 v7, v3
	;; [unrolled: 1-line block ×3, first 2 shown]
	s_waitcnt lgkmcnt(0)
	v_add_co_u32 v0, vcc_lo, s0, v4
	v_add_co_ci_u32_e64 v1, null, s1, v5, vcc_lo
	global_load_dwordx3 v[0:2], v[0:1], off
	s_branch .LBB0_3
.LBB0_2:                                ;   in Loop: Header=BB0_3 Depth=1
	s_or_b32 exec_lo, exec_lo, s7
	s_add_u32 s4, s4, 24
	s_addc_u32 s5, s5, 0
	s_cmp_eq_u64 s[4:5], 0
	s_cbranch_scc1 .LBB0_7
.LBB0_3:                                ; =>This Inner Loop Header: Depth=1
	s_add_u32 s6, s0, s4
	s_addc_u32 s7, s1, s5
	s_mov_b32 s13, exec_lo
	s_clause 0x1
	s_load_dwordx2 s[8:9], s[6:7], 0x1d4c0
	s_load_dword s12, s[6:7], s10 offset:0x8
	s_waitcnt vmcnt(0) lgkmcnt(0)
	v_subrev_f32_e32 v9, s9, v1
	v_subrev_f32_e32 v10, s8, v0
	v_mul_f32_e32 v9, v9, v9
	v_fmac_f32_e32 v9, v10, v10
	v_subrev_f32_e32 v10, s12, v2
	v_fmac_f32_e32 v9, v10, v10
	v_cmpx_ge_f32_e32 0x42700000, v9
	s_cbranch_execz .LBB0_5
; %bb.4:                                ;   in Loop: Header=BB0_3 Depth=1
	v_mul_f32_e32 v9, 0xbd000000, v9
	v_mul_f32_e32 v10, 0x3fb8aa3b, v9
	v_cmp_ngt_f32_e32 vcc_lo, 0xc2ce8ed0, v9
	v_fma_f32 v11, 0x3fb8aa3b, v9, -v10
	v_rndne_f32_e32 v12, v10
	v_fmac_f32_e32 v11, 0x32a5705f, v9
	v_sub_f32_e32 v10, v10, v12
	v_add_f32_e32 v10, v10, v11
	v_cvt_i32_f32_e32 v11, v12
	v_exp_f32_e32 v10, v10
	v_ldexp_f32 v10, v10, v11
	v_cndmask_b32_e32 v10, 0, v10, vcc_lo
	v_cmp_nlt_f32_e32 vcc_lo, 0x42b17218, v9
	v_cndmask_b32_e32 v9, 0x7f800000, v10, vcc_lo
	v_fmac_f32_e32 v6, s8, v9
	v_fmac_f32_e32 v7, s9, v9
	;; [unrolled: 1-line block ×3, first 2 shown]
	v_add_f32_e32 v3, v3, v9
.LBB0_5:                                ;   in Loop: Header=BB0_3 Depth=1
	s_or_b32 exec_lo, exec_lo, s13
	s_clause 0x1
	s_load_dwordx2 s[8:9], s[6:7], 0x1d4cc
	s_load_dword s6, s[6:7], s11 offset:0x8
	s_mov_b32 s7, exec_lo
	s_waitcnt lgkmcnt(0)
	v_subrev_f32_e32 v9, s9, v1
	v_subrev_f32_e32 v10, s8, v0
	v_mul_f32_e32 v9, v9, v9
	v_fmac_f32_e32 v9, v10, v10
	v_subrev_f32_e32 v10, s6, v2
	v_fmac_f32_e32 v9, v10, v10
	v_cmpx_ge_f32_e32 0x42700000, v9
	s_cbranch_execz .LBB0_2
; %bb.6:                                ;   in Loop: Header=BB0_3 Depth=1
	v_mul_f32_e32 v9, 0xbd000000, v9
	v_mul_f32_e32 v10, 0x3fb8aa3b, v9
	v_cmp_ngt_f32_e32 vcc_lo, 0xc2ce8ed0, v9
	v_fma_f32 v11, 0x3fb8aa3b, v9, -v10
	v_rndne_f32_e32 v12, v10
	v_fmac_f32_e32 v11, 0x32a5705f, v9
	v_sub_f32_e32 v10, v10, v12
	v_add_f32_e32 v10, v10, v11
	v_cvt_i32_f32_e32 v11, v12
	v_exp_f32_e32 v10, v10
	v_ldexp_f32 v10, v10, v11
	v_cndmask_b32_e32 v10, 0, v10, vcc_lo
	v_cmp_nlt_f32_e32 vcc_lo, 0x42b17218, v9
	v_cndmask_b32_e32 v9, 0x7f800000, v10, vcc_lo
	v_fmac_f32_e32 v6, s8, v9
	v_fmac_f32_e32 v7, s9, v9
	;; [unrolled: 1-line block ×3, first 2 shown]
	v_add_f32_e32 v3, v3, v9
	s_branch .LBB0_2
.LBB0_7:
	v_div_scale_f32 v0, null, v3, v3, v6
	v_div_scale_f32 v1, null, v3, v3, v7
	;; [unrolled: 1-line block ×3, first 2 shown]
	v_rcp_f32_e32 v9, v0
	v_rcp_f32_e32 v10, v1
	v_div_scale_f32 v12, vcc_lo, v6, v3, v6
	v_rcp_f32_e32 v11, v2
	v_div_scale_f32 v13, s0, v7, v3, v7
	v_div_scale_f32 v17, s1, v8, v3, v8
	v_fma_f32 v14, -v0, v9, 1.0
	v_fma_f32 v15, -v1, v10, 1.0
	;; [unrolled: 1-line block ×3, first 2 shown]
	v_fmac_f32_e32 v9, v14, v9
	v_fmac_f32_e32 v10, v15, v10
	;; [unrolled: 1-line block ×3, first 2 shown]
	v_mul_f32_e32 v14, v12, v9
	v_mul_f32_e32 v15, v13, v10
	v_mul_f32_e32 v16, v17, v11
	v_fma_f32 v18, -v0, v14, v12
	v_fma_f32 v19, -v1, v15, v13
	;; [unrolled: 1-line block ×3, first 2 shown]
	v_fmac_f32_e32 v14, v18, v9
	v_fmac_f32_e32 v15, v19, v10
	;; [unrolled: 1-line block ×3, first 2 shown]
	v_fma_f32 v0, -v0, v14, v12
	v_fma_f32 v1, -v1, v15, v13
	;; [unrolled: 1-line block ×3, first 2 shown]
	v_div_fmas_f32 v0, v0, v9, v14
	s_mov_b32 vcc_lo, s0
	v_div_fmas_f32 v1, v1, v10, v15
	s_mov_b32 vcc_lo, s1
	v_div_fixup_f32 v0, v0, v3, v6
	v_div_fmas_f32 v2, v2, v11, v16
	v_add_co_u32 v4, vcc_lo, s2, v4
	v_add_co_ci_u32_e64 v5, null, s3, v5, vcc_lo
	v_div_fixup_f32 v1, v1, v3, v7
	v_div_fixup_f32 v2, v2, v3, v8
	global_store_dwordx3 v[4:5], v[0:2], off
.LBB0_8:
	s_endpgm
	.section	.rodata,"a",@progbits
	.p2align	6, 0x0
	.amdhsa_kernel _ZN10mean_shift3gpu10mean_shiftEPKfPf
		.amdhsa_group_segment_fixed_size 0
		.amdhsa_private_segment_fixed_size 0
		.amdhsa_kernarg_size 272
		.amdhsa_user_sgpr_count 6
		.amdhsa_user_sgpr_private_segment_buffer 1
		.amdhsa_user_sgpr_dispatch_ptr 0
		.amdhsa_user_sgpr_queue_ptr 0
		.amdhsa_user_sgpr_kernarg_segment_ptr 1
		.amdhsa_user_sgpr_dispatch_id 0
		.amdhsa_user_sgpr_flat_scratch_init 0
		.amdhsa_user_sgpr_private_segment_size 0
		.amdhsa_wavefront_size32 1
		.amdhsa_uses_dynamic_stack 0
		.amdhsa_system_sgpr_private_segment_wavefront_offset 0
		.amdhsa_system_sgpr_workgroup_id_x 1
		.amdhsa_system_sgpr_workgroup_id_y 0
		.amdhsa_system_sgpr_workgroup_id_z 0
		.amdhsa_system_sgpr_workgroup_info 0
		.amdhsa_system_vgpr_workitem_id 0
		.amdhsa_next_free_vgpr 21
		.amdhsa_next_free_sgpr 14
		.amdhsa_reserve_vcc 1
		.amdhsa_reserve_flat_scratch 0
		.amdhsa_float_round_mode_32 0
		.amdhsa_float_round_mode_16_64 0
		.amdhsa_float_denorm_mode_32 3
		.amdhsa_float_denorm_mode_16_64 3
		.amdhsa_dx10_clamp 1
		.amdhsa_ieee_mode 1
		.amdhsa_fp16_overflow 0
		.amdhsa_workgroup_processor_mode 1
		.amdhsa_memory_ordered 1
		.amdhsa_forward_progress 1
		.amdhsa_shared_vgpr_count 0
		.amdhsa_exception_fp_ieee_invalid_op 0
		.amdhsa_exception_fp_denorm_src 0
		.amdhsa_exception_fp_ieee_div_zero 0
		.amdhsa_exception_fp_ieee_overflow 0
		.amdhsa_exception_fp_ieee_underflow 0
		.amdhsa_exception_fp_ieee_inexact 0
		.amdhsa_exception_int_div_zero 0
	.end_amdhsa_kernel
	.text
.Lfunc_end0:
	.size	_ZN10mean_shift3gpu10mean_shiftEPKfPf, .Lfunc_end0-_ZN10mean_shift3gpu10mean_shiftEPKfPf
                                        ; -- End function
	.set _ZN10mean_shift3gpu10mean_shiftEPKfPf.num_vgpr, 21
	.set _ZN10mean_shift3gpu10mean_shiftEPKfPf.num_agpr, 0
	.set _ZN10mean_shift3gpu10mean_shiftEPKfPf.numbered_sgpr, 14
	.set _ZN10mean_shift3gpu10mean_shiftEPKfPf.num_named_barrier, 0
	.set _ZN10mean_shift3gpu10mean_shiftEPKfPf.private_seg_size, 0
	.set _ZN10mean_shift3gpu10mean_shiftEPKfPf.uses_vcc, 1
	.set _ZN10mean_shift3gpu10mean_shiftEPKfPf.uses_flat_scratch, 0
	.set _ZN10mean_shift3gpu10mean_shiftEPKfPf.has_dyn_sized_stack, 0
	.set _ZN10mean_shift3gpu10mean_shiftEPKfPf.has_recursion, 0
	.set _ZN10mean_shift3gpu10mean_shiftEPKfPf.has_indirect_call, 0
	.section	.AMDGPU.csdata,"",@progbits
; Kernel info:
; codeLenInByte = 776
; TotalNumSgprs: 16
; NumVgprs: 21
; ScratchSize: 0
; MemoryBound: 0
; FloatMode: 240
; IeeeMode: 1
; LDSByteSize: 0 bytes/workgroup (compile time only)
; SGPRBlocks: 0
; VGPRBlocks: 2
; NumSGPRsForWavesPerEU: 16
; NumVGPRsForWavesPerEU: 21
; Occupancy: 16
; WaveLimiterHint : 0
; COMPUTE_PGM_RSRC2:SCRATCH_EN: 0
; COMPUTE_PGM_RSRC2:USER_SGPR: 6
; COMPUTE_PGM_RSRC2:TRAP_HANDLER: 0
; COMPUTE_PGM_RSRC2:TGID_X_EN: 1
; COMPUTE_PGM_RSRC2:TGID_Y_EN: 0
; COMPUTE_PGM_RSRC2:TGID_Z_EN: 0
; COMPUTE_PGM_RSRC2:TIDIG_COMP_CNT: 0
	.text
	.protected	_ZN10mean_shift3gpu17mean_shift_tilingEPKfPf ; -- Begin function _ZN10mean_shift3gpu17mean_shift_tilingEPKfPf
	.globl	_ZN10mean_shift3gpu17mean_shift_tilingEPKfPf
	.p2align	8
	.type	_ZN10mean_shift3gpu17mean_shift_tilingEPKfPf,@function
_ZN10mean_shift3gpu17mean_shift_tilingEPKfPf: ; @_ZN10mean_shift3gpu17mean_shift_tilingEPKfPf
; %bb.0:
	s_load_dword s0, s[4:5], 0x1c
	v_mov_b32_e32 v11, 0
	v_mov_b32_e32 v14, 0
	;; [unrolled: 1-line block ×4, first 2 shown]
	v_mul_u32_u24_e32 v18, 12, v0
	v_lshl_add_u32 v19, v0, 2, 0x300
	v_mov_b32_e32 v17, 0
	s_waitcnt lgkmcnt(0)
	s_and_b32 s0, s0, 0xffff
	v_mad_u64_u32 v[9:10], null, s6, s0, v[0:1]
	s_load_dwordx4 s[0:3], s[4:5], 0x0
	s_mov_b32 s4, 0
	v_lshl_add_u32 v1, v9, 1, v9
	v_ashrrev_i32_e32 v2, 31, v1
	v_lshlrev_b64 v[7:8], 2, v[1:2]
	s_waitcnt lgkmcnt(0)
	v_add_co_u32 v12, vcc_lo, s0, v7
	v_add_co_ci_u32_e64 v13, null, s1, v8, vcc_lo
	s_branch .LBB1_2
.LBB1_1:                                ;   in Loop: Header=BB1_2 Depth=1
	s_add_i32 s4, s4, 1
	s_cmpk_eq_i32 s4, 0x9d
	s_barrier
	buffer_gl0_inv
	s_cbranch_scc1 .LBB1_16
.LBB1_2:                                ; =>This Loop Header: Depth=1
                                        ;     Child Loop BB1_8 Depth 2
	v_lshl_add_u32 v1, s4, 6, v0
	s_mov_b32 s5, exec_lo
	v_cmpx_lt_u32_e32 0x270f, v1
	s_xor_b32 s5, exec_lo, s5
	s_cbranch_execz .LBB1_4
; %bb.3:                                ;   in Loop: Header=BB1_2 Depth=1
	ds_write2_b32 v18, v11, v11 offset1:1
	ds_write_b32 v18, v11 offset:8
                                        ; implicit-def: $vgpr1
.LBB1_4:                                ;   in Loop: Header=BB1_2 Depth=1
	s_or_saveexec_b32 s5, s5
	v_mov_b32_e32 v2, 0
	s_xor_b32 exec_lo, exec_lo, s5
	s_cbranch_execz .LBB1_6
; %bb.5:                                ;   in Loop: Header=BB1_2 Depth=1
	v_lshl_add_u32 v10, v1, 1, v1
	v_lshlrev_b64 v[1:2], 2, v[10:11]
	v_add_co_u32 v1, vcc_lo, s0, v1
	v_add_co_ci_u32_e64 v2, null, s1, v2, vcc_lo
	global_load_dwordx3 v[3:5], v[1:2], off
	v_mov_b32_e32 v2, 1.0
	s_waitcnt vmcnt(0)
	ds_write2_b32 v18, v3, v4 offset1:1
	ds_write_b32 v18, v5 offset:8
.LBB1_6:                                ;   in Loop: Header=BB1_2 Depth=1
	s_or_b32 exec_lo, exec_lo, s5
	ds_write_b32 v19, v2
	s_waitcnt lgkmcnt(0)
	s_barrier
	buffer_gl0_inv
	global_load_dwordx3 v[1:3], v[12:13], off
	s_mov_b32 s5, 0
	s_mov_b32 s6, 0
	s_branch .LBB1_8
.LBB1_7:                                ;   in Loop: Header=BB1_8 Depth=2
	s_or_b32 exec_lo, exec_lo, s7
	s_add_i32 s6, s6, 16
	s_add_i32 s5, s5, 48
	s_cmpk_eq_i32 s6, 0x100
	s_cbranch_scc1 .LBB1_1
.LBB1_8:                                ;   Parent Loop BB1_2 Depth=1
                                        ; =>  This Inner Loop Header: Depth=2
	v_mov_b32_e32 v4, s5
	v_mov_b32_e32 v10, s6
	s_mov_b32 s7, exec_lo
	ds_read_b96 v[4:6], v4
	ds_read_b32 v10, v10 offset:768
	s_waitcnt vmcnt(0) lgkmcnt(1)
	v_sub_f32_e32 v20, v2, v5
	v_sub_f32_e32 v21, v1, v4
	;; [unrolled: 1-line block ×3, first 2 shown]
	v_mul_f32_e32 v20, v20, v20
	v_fmac_f32_e32 v20, v21, v21
	s_waitcnt lgkmcnt(0)
	v_mul_f32_e32 v21, 0x42700000, v10
	v_fmac_f32_e32 v20, v22, v22
	v_cmpx_le_f32_e32 v20, v21
	s_cbranch_execz .LBB1_10
; %bb.9:                                ;   in Loop: Header=BB1_8 Depth=2
	v_mul_f32_e32 v20, 0xbd000000, v20
	v_mul_f32_e32 v21, 0x3fb8aa3b, v20
	v_cmp_ngt_f32_e32 vcc_lo, 0xc2ce8ed0, v20
	v_fma_f32 v22, 0x3fb8aa3b, v20, -v21
	v_rndne_f32_e32 v23, v21
	v_fmac_f32_e32 v22, 0x32a5705f, v20
	v_sub_f32_e32 v21, v21, v23
	v_add_f32_e32 v21, v21, v22
	v_cvt_i32_f32_e32 v22, v23
	v_exp_f32_e32 v21, v21
	v_ldexp_f32 v21, v21, v22
	v_cndmask_b32_e32 v21, 0, v21, vcc_lo
	v_cmp_nlt_f32_e32 vcc_lo, 0x42b17218, v20
	v_cndmask_b32_e32 v20, 0x7f800000, v21, vcc_lo
	v_fmac_f32_e32 v16, v20, v4
	v_fmac_f32_e32 v15, v20, v5
	;; [unrolled: 1-line block ×4, first 2 shown]
.LBB1_10:                               ;   in Loop: Header=BB1_8 Depth=2
	s_or_b32 exec_lo, exec_lo, s7
	v_mov_b32_e32 v6, s5
	s_mov_b32 s7, exec_lo
	ds_read2_b32 v[4:5], v6 offset0:3 offset1:4
	ds_read_b32 v10, v6 offset:20
	v_mov_b32_e32 v6, s6
	ds_read_b32 v6, v6 offset:772
	s_waitcnt lgkmcnt(2)
	v_sub_f32_e32 v20, v2, v5
	v_sub_f32_e32 v21, v1, v4
	s_waitcnt lgkmcnt(1)
	v_sub_f32_e32 v22, v3, v10
	v_mul_f32_e32 v20, v20, v20
	v_fmac_f32_e32 v20, v21, v21
	s_waitcnt lgkmcnt(0)
	v_mul_f32_e32 v21, 0x42700000, v6
	v_fmac_f32_e32 v20, v22, v22
	v_cmpx_le_f32_e32 v20, v21
	s_cbranch_execz .LBB1_12
; %bb.11:                               ;   in Loop: Header=BB1_8 Depth=2
	v_mul_f32_e32 v20, 0xbd000000, v20
	v_mul_f32_e32 v21, 0x3fb8aa3b, v20
	v_cmp_ngt_f32_e32 vcc_lo, 0xc2ce8ed0, v20
	v_fma_f32 v22, 0x3fb8aa3b, v20, -v21
	v_rndne_f32_e32 v23, v21
	v_fmac_f32_e32 v22, 0x32a5705f, v20
	v_sub_f32_e32 v21, v21, v23
	v_add_f32_e32 v21, v21, v22
	v_cvt_i32_f32_e32 v22, v23
	v_exp_f32_e32 v21, v21
	v_ldexp_f32 v21, v21, v22
	v_cndmask_b32_e32 v21, 0, v21, vcc_lo
	v_cmp_nlt_f32_e32 vcc_lo, 0x42b17218, v20
	v_cndmask_b32_e32 v20, 0x7f800000, v21, vcc_lo
	v_fmac_f32_e32 v16, v20, v4
	v_fmac_f32_e32 v15, v20, v5
	;; [unrolled: 1-line block ×4, first 2 shown]
.LBB1_12:                               ;   in Loop: Header=BB1_8 Depth=2
	s_or_b32 exec_lo, exec_lo, s7
	v_mov_b32_e32 v6, s5
	s_mov_b32 s7, exec_lo
	ds_read_b64 v[4:5], v6 offset:24
	ds_read_b32 v10, v6 offset:32
	v_mov_b32_e32 v6, s6
	ds_read_b32 v6, v6 offset:776
	s_waitcnt lgkmcnt(2)
	v_sub_f32_e32 v20, v2, v5
	v_sub_f32_e32 v21, v1, v4
	s_waitcnt lgkmcnt(1)
	v_sub_f32_e32 v22, v3, v10
	v_mul_f32_e32 v20, v20, v20
	v_fmac_f32_e32 v20, v21, v21
	s_waitcnt lgkmcnt(0)
	v_mul_f32_e32 v21, 0x42700000, v6
	v_fmac_f32_e32 v20, v22, v22
	v_cmpx_le_f32_e32 v20, v21
	s_cbranch_execz .LBB1_14
; %bb.13:                               ;   in Loop: Header=BB1_8 Depth=2
	v_mul_f32_e32 v20, 0xbd000000, v20
	v_mul_f32_e32 v21, 0x3fb8aa3b, v20
	v_cmp_ngt_f32_e32 vcc_lo, 0xc2ce8ed0, v20
	v_fma_f32 v22, 0x3fb8aa3b, v20, -v21
	v_rndne_f32_e32 v23, v21
	v_fmac_f32_e32 v22, 0x32a5705f, v20
	v_sub_f32_e32 v21, v21, v23
	v_add_f32_e32 v21, v21, v22
	v_cvt_i32_f32_e32 v22, v23
	v_exp_f32_e32 v21, v21
	v_ldexp_f32 v21, v21, v22
	v_cndmask_b32_e32 v21, 0, v21, vcc_lo
	v_cmp_nlt_f32_e32 vcc_lo, 0x42b17218, v20
	v_cndmask_b32_e32 v20, 0x7f800000, v21, vcc_lo
	v_fmac_f32_e32 v16, v20, v4
	v_fmac_f32_e32 v15, v20, v5
	;; [unrolled: 1-line block ×4, first 2 shown]
.LBB1_14:                               ;   in Loop: Header=BB1_8 Depth=2
	s_or_b32 exec_lo, exec_lo, s7
	v_mov_b32_e32 v6, s5
	s_mov_b32 s7, exec_lo
	ds_read2_b32 v[4:5], v6 offset0:9 offset1:10
	ds_read_b32 v10, v6 offset:44
	v_mov_b32_e32 v6, s6
	ds_read_b32 v6, v6 offset:780
	s_waitcnt lgkmcnt(2)
	v_sub_f32_e32 v20, v2, v5
	v_sub_f32_e32 v21, v1, v4
	s_waitcnt lgkmcnt(1)
	v_sub_f32_e32 v22, v3, v10
	v_mul_f32_e32 v20, v20, v20
	v_fmac_f32_e32 v20, v21, v21
	s_waitcnt lgkmcnt(0)
	v_mul_f32_e32 v21, 0x42700000, v6
	v_fmac_f32_e32 v20, v22, v22
	v_cmpx_le_f32_e32 v20, v21
	s_cbranch_execz .LBB1_7
; %bb.15:                               ;   in Loop: Header=BB1_8 Depth=2
	v_mul_f32_e32 v20, 0xbd000000, v20
	v_mul_f32_e32 v21, 0x3fb8aa3b, v20
	v_cmp_ngt_f32_e32 vcc_lo, 0xc2ce8ed0, v20
	v_fma_f32 v22, 0x3fb8aa3b, v20, -v21
	v_rndne_f32_e32 v23, v21
	v_fmac_f32_e32 v22, 0x32a5705f, v20
	v_sub_f32_e32 v21, v21, v23
	v_add_f32_e32 v21, v21, v22
	v_cvt_i32_f32_e32 v22, v23
	v_exp_f32_e32 v21, v21
	v_ldexp_f32 v21, v21, v22
	v_cndmask_b32_e32 v21, 0, v21, vcc_lo
	v_cmp_nlt_f32_e32 vcc_lo, 0x42b17218, v20
	v_cndmask_b32_e32 v20, 0x7f800000, v21, vcc_lo
	v_fmac_f32_e32 v16, v20, v4
	v_fmac_f32_e32 v15, v20, v5
	;; [unrolled: 1-line block ×4, first 2 shown]
	s_branch .LBB1_7
.LBB1_16:
	s_mov_b32 s0, exec_lo
	v_cmpx_gt_i32_e32 0x2710, v9
	s_cbranch_execz .LBB1_18
; %bb.17:
	v_div_scale_f32 v0, null, v14, v14, v16
	v_div_scale_f32 v1, null, v14, v14, v15
	;; [unrolled: 1-line block ×3, first 2 shown]
	v_rcp_f32_e32 v3, v0
	v_rcp_f32_e32 v4, v1
	v_div_scale_f32 v6, vcc_lo, v16, v14, v16
	v_rcp_f32_e32 v5, v2
	v_div_scale_f32 v9, s0, v15, v14, v15
	v_div_scale_f32 v13, s1, v17, v14, v17
	v_fma_f32 v10, -v0, v3, 1.0
	v_fma_f32 v11, -v1, v4, 1.0
	v_fma_f32 v12, -v2, v5, 1.0
	v_fmac_f32_e32 v3, v10, v3
	v_fmac_f32_e32 v4, v11, v4
	;; [unrolled: 1-line block ×3, first 2 shown]
	v_mul_f32_e32 v10, v6, v3
	v_mul_f32_e32 v11, v9, v4
	;; [unrolled: 1-line block ×3, first 2 shown]
	v_fma_f32 v18, -v0, v10, v6
	v_fma_f32 v19, -v1, v11, v9
	;; [unrolled: 1-line block ×3, first 2 shown]
	v_fmac_f32_e32 v10, v18, v3
	v_fmac_f32_e32 v11, v19, v4
	;; [unrolled: 1-line block ×3, first 2 shown]
	v_fma_f32 v0, -v0, v10, v6
	v_fma_f32 v1, -v1, v11, v9
	;; [unrolled: 1-line block ×3, first 2 shown]
	v_div_fmas_f32 v0, v0, v3, v10
	s_mov_b32 vcc_lo, s0
	v_div_fmas_f32 v1, v1, v4, v11
	s_mov_b32 vcc_lo, s1
	v_div_fixup_f32 v0, v0, v14, v16
	v_div_fmas_f32 v2, v2, v5, v12
	v_add_co_u32 v3, vcc_lo, s2, v7
	v_add_co_ci_u32_e64 v4, null, s3, v8, vcc_lo
	v_div_fixup_f32 v1, v1, v14, v15
	v_div_fixup_f32 v2, v2, v14, v17
	global_store_dwordx3 v[3:4], v[0:2], off
.LBB1_18:
	s_endpgm
	.section	.rodata,"a",@progbits
	.p2align	6, 0x0
	.amdhsa_kernel _ZN10mean_shift3gpu17mean_shift_tilingEPKfPf
		.amdhsa_group_segment_fixed_size 1024
		.amdhsa_private_segment_fixed_size 0
		.amdhsa_kernarg_size 272
		.amdhsa_user_sgpr_count 6
		.amdhsa_user_sgpr_private_segment_buffer 1
		.amdhsa_user_sgpr_dispatch_ptr 0
		.amdhsa_user_sgpr_queue_ptr 0
		.amdhsa_user_sgpr_kernarg_segment_ptr 1
		.amdhsa_user_sgpr_dispatch_id 0
		.amdhsa_user_sgpr_flat_scratch_init 0
		.amdhsa_user_sgpr_private_segment_size 0
		.amdhsa_wavefront_size32 1
		.amdhsa_uses_dynamic_stack 0
		.amdhsa_system_sgpr_private_segment_wavefront_offset 0
		.amdhsa_system_sgpr_workgroup_id_x 1
		.amdhsa_system_sgpr_workgroup_id_y 0
		.amdhsa_system_sgpr_workgroup_id_z 0
		.amdhsa_system_sgpr_workgroup_info 0
		.amdhsa_system_vgpr_workitem_id 0
		.amdhsa_next_free_vgpr 24
		.amdhsa_next_free_sgpr 8
		.amdhsa_reserve_vcc 1
		.amdhsa_reserve_flat_scratch 0
		.amdhsa_float_round_mode_32 0
		.amdhsa_float_round_mode_16_64 0
		.amdhsa_float_denorm_mode_32 3
		.amdhsa_float_denorm_mode_16_64 3
		.amdhsa_dx10_clamp 1
		.amdhsa_ieee_mode 1
		.amdhsa_fp16_overflow 0
		.amdhsa_workgroup_processor_mode 1
		.amdhsa_memory_ordered 1
		.amdhsa_forward_progress 1
		.amdhsa_shared_vgpr_count 0
		.amdhsa_exception_fp_ieee_invalid_op 0
		.amdhsa_exception_fp_denorm_src 0
		.amdhsa_exception_fp_ieee_div_zero 0
		.amdhsa_exception_fp_ieee_overflow 0
		.amdhsa_exception_fp_ieee_underflow 0
		.amdhsa_exception_fp_ieee_inexact 0
		.amdhsa_exception_int_div_zero 0
	.end_amdhsa_kernel
	.text
.Lfunc_end1:
	.size	_ZN10mean_shift3gpu17mean_shift_tilingEPKfPf, .Lfunc_end1-_ZN10mean_shift3gpu17mean_shift_tilingEPKfPf
                                        ; -- End function
	.set _ZN10mean_shift3gpu17mean_shift_tilingEPKfPf.num_vgpr, 24
	.set _ZN10mean_shift3gpu17mean_shift_tilingEPKfPf.num_agpr, 0
	.set _ZN10mean_shift3gpu17mean_shift_tilingEPKfPf.numbered_sgpr, 8
	.set _ZN10mean_shift3gpu17mean_shift_tilingEPKfPf.num_named_barrier, 0
	.set _ZN10mean_shift3gpu17mean_shift_tilingEPKfPf.private_seg_size, 0
	.set _ZN10mean_shift3gpu17mean_shift_tilingEPKfPf.uses_vcc, 1
	.set _ZN10mean_shift3gpu17mean_shift_tilingEPKfPf.uses_flat_scratch, 0
	.set _ZN10mean_shift3gpu17mean_shift_tilingEPKfPf.has_dyn_sized_stack, 0
	.set _ZN10mean_shift3gpu17mean_shift_tilingEPKfPf.has_recursion, 0
	.set _ZN10mean_shift3gpu17mean_shift_tilingEPKfPf.has_indirect_call, 0
	.section	.AMDGPU.csdata,"",@progbits
; Kernel info:
; codeLenInByte = 1392
; TotalNumSgprs: 10
; NumVgprs: 24
; ScratchSize: 0
; MemoryBound: 0
; FloatMode: 240
; IeeeMode: 1
; LDSByteSize: 1024 bytes/workgroup (compile time only)
; SGPRBlocks: 0
; VGPRBlocks: 2
; NumSGPRsForWavesPerEU: 10
; NumVGPRsForWavesPerEU: 24
; Occupancy: 16
; WaveLimiterHint : 0
; COMPUTE_PGM_RSRC2:SCRATCH_EN: 0
; COMPUTE_PGM_RSRC2:USER_SGPR: 6
; COMPUTE_PGM_RSRC2:TRAP_HANDLER: 0
; COMPUTE_PGM_RSRC2:TGID_X_EN: 1
; COMPUTE_PGM_RSRC2:TGID_Y_EN: 0
; COMPUTE_PGM_RSRC2:TGID_Z_EN: 0
; COMPUTE_PGM_RSRC2:TIDIG_COMP_CNT: 0
	.text
	.p2alignl 6, 3214868480
	.fill 48, 4, 3214868480
	.section	.AMDGPU.gpr_maximums,"",@progbits
	.set amdgpu.max_num_vgpr, 0
	.set amdgpu.max_num_agpr, 0
	.set amdgpu.max_num_sgpr, 0
	.text
	.type	__hip_cuid_f3a8f2558087bfd9,@object ; @__hip_cuid_f3a8f2558087bfd9
	.section	.bss,"aw",@nobits
	.globl	__hip_cuid_f3a8f2558087bfd9
__hip_cuid_f3a8f2558087bfd9:
	.byte	0                               ; 0x0
	.size	__hip_cuid_f3a8f2558087bfd9, 1

	.ident	"AMD clang version 22.0.0git (https://github.com/RadeonOpenCompute/llvm-project roc-7.2.4 26084 f58b06dce1f9c15707c5f808fd002e18c2accf7e)"
	.section	".note.GNU-stack","",@progbits
	.addrsig
	.addrsig_sym __hip_cuid_f3a8f2558087bfd9
	.amdgpu_metadata
---
amdhsa.kernels:
  - .args:
      - .address_space:  global
        .offset:         0
        .size:           8
        .value_kind:     global_buffer
      - .address_space:  global
        .offset:         8
        .size:           8
        .value_kind:     global_buffer
      - .offset:         16
        .size:           4
        .value_kind:     hidden_block_count_x
      - .offset:         20
        .size:           4
        .value_kind:     hidden_block_count_y
      - .offset:         24
        .size:           4
        .value_kind:     hidden_block_count_z
      - .offset:         28
        .size:           2
        .value_kind:     hidden_group_size_x
      - .offset:         30
        .size:           2
        .value_kind:     hidden_group_size_y
      - .offset:         32
        .size:           2
        .value_kind:     hidden_group_size_z
      - .offset:         34
        .size:           2
        .value_kind:     hidden_remainder_x
      - .offset:         36
        .size:           2
        .value_kind:     hidden_remainder_y
      - .offset:         38
        .size:           2
        .value_kind:     hidden_remainder_z
      - .offset:         56
        .size:           8
        .value_kind:     hidden_global_offset_x
      - .offset:         64
        .size:           8
        .value_kind:     hidden_global_offset_y
      - .offset:         72
        .size:           8
        .value_kind:     hidden_global_offset_z
      - .offset:         80
        .size:           2
        .value_kind:     hidden_grid_dims
    .group_segment_fixed_size: 0
    .kernarg_segment_align: 8
    .kernarg_segment_size: 272
    .language:       OpenCL C
    .language_version:
      - 2
      - 0
    .max_flat_workgroup_size: 1024
    .name:           _ZN10mean_shift3gpu10mean_shiftEPKfPf
    .private_segment_fixed_size: 0
    .sgpr_count:     16
    .sgpr_spill_count: 0
    .symbol:         _ZN10mean_shift3gpu10mean_shiftEPKfPf.kd
    .uniform_work_group_size: 1
    .uses_dynamic_stack: false
    .vgpr_count:     21
    .vgpr_spill_count: 0
    .wavefront_size: 32
    .workgroup_processor_mode: 1
  - .args:
      - .address_space:  global
        .offset:         0
        .size:           8
        .value_kind:     global_buffer
      - .address_space:  global
        .offset:         8
        .size:           8
        .value_kind:     global_buffer
      - .offset:         16
        .size:           4
        .value_kind:     hidden_block_count_x
      - .offset:         20
        .size:           4
        .value_kind:     hidden_block_count_y
      - .offset:         24
        .size:           4
        .value_kind:     hidden_block_count_z
      - .offset:         28
        .size:           2
        .value_kind:     hidden_group_size_x
      - .offset:         30
        .size:           2
        .value_kind:     hidden_group_size_y
      - .offset:         32
        .size:           2
        .value_kind:     hidden_group_size_z
      - .offset:         34
        .size:           2
        .value_kind:     hidden_remainder_x
      - .offset:         36
        .size:           2
        .value_kind:     hidden_remainder_y
      - .offset:         38
        .size:           2
        .value_kind:     hidden_remainder_z
      - .offset:         56
        .size:           8
        .value_kind:     hidden_global_offset_x
      - .offset:         64
        .size:           8
        .value_kind:     hidden_global_offset_y
      - .offset:         72
        .size:           8
        .value_kind:     hidden_global_offset_z
      - .offset:         80
        .size:           2
        .value_kind:     hidden_grid_dims
    .group_segment_fixed_size: 1024
    .kernarg_segment_align: 8
    .kernarg_segment_size: 272
    .language:       OpenCL C
    .language_version:
      - 2
      - 0
    .max_flat_workgroup_size: 1024
    .name:           _ZN10mean_shift3gpu17mean_shift_tilingEPKfPf
    .private_segment_fixed_size: 0
    .sgpr_count:     10
    .sgpr_spill_count: 0
    .symbol:         _ZN10mean_shift3gpu17mean_shift_tilingEPKfPf.kd
    .uniform_work_group_size: 1
    .uses_dynamic_stack: false
    .vgpr_count:     24
    .vgpr_spill_count: 0
    .wavefront_size: 32
    .workgroup_processor_mode: 1
amdhsa.target:   amdgcn-amd-amdhsa--gfx1030
amdhsa.version:
  - 1
  - 2
...

	.end_amdgpu_metadata
